;; amdgpu-corpus repo=ROCm/rocFFT kind=compiled arch=gfx1030 opt=O3
	.text
	.amdgcn_target "amdgcn-amd-amdhsa--gfx1030"
	.amdhsa_code_object_version 6
	.protected	fft_rtc_back_len2187_factors_3_3_3_3_3_3_3_wgs_243_tpt_243_halfLds_dp_ip_CI_unitstride_sbrr_dirReg ; -- Begin function fft_rtc_back_len2187_factors_3_3_3_3_3_3_3_wgs_243_tpt_243_halfLds_dp_ip_CI_unitstride_sbrr_dirReg
	.globl	fft_rtc_back_len2187_factors_3_3_3_3_3_3_3_wgs_243_tpt_243_halfLds_dp_ip_CI_unitstride_sbrr_dirReg
	.p2align	8
	.type	fft_rtc_back_len2187_factors_3_3_3_3_3_3_3_wgs_243_tpt_243_halfLds_dp_ip_CI_unitstride_sbrr_dirReg,@function
fft_rtc_back_len2187_factors_3_3_3_3_3_3_3_wgs_243_tpt_243_halfLds_dp_ip_CI_unitstride_sbrr_dirReg: ; @fft_rtc_back_len2187_factors_3_3_3_3_3_3_3_wgs_243_tpt_243_halfLds_dp_ip_CI_unitstride_sbrr_dirReg
; %bb.0:
	s_clause 0x2
	s_load_dwordx4 s[8:11], s[4:5], 0x0
	s_load_dwordx2 s[2:3], s[4:5], 0x50
	s_load_dwordx2 s[12:13], s[4:5], 0x18
	v_mul_u32_u24_e32 v1, 0x10e, v0
	v_mov_b32_e32 v3, 0
	v_add_nc_u32_sdwa v5, s6, v1 dst_sel:DWORD dst_unused:UNUSED_PAD src0_sel:DWORD src1_sel:WORD_1
	v_mov_b32_e32 v1, 0
	v_mov_b32_e32 v6, v3
	v_mov_b32_e32 v2, 0
	s_waitcnt lgkmcnt(0)
	v_cmp_lt_u64_e64 s0, s[10:11], 2
	s_and_b32 vcc_lo, exec_lo, s0
	s_cbranch_vccnz .LBB0_8
; %bb.1:
	s_load_dwordx2 s[0:1], s[4:5], 0x10
	v_mov_b32_e32 v1, 0
	s_add_u32 s6, s12, 8
	v_mov_b32_e32 v2, 0
	s_addc_u32 s7, s13, 0
	s_mov_b64 s[16:17], 1
	s_waitcnt lgkmcnt(0)
	s_add_u32 s14, s0, 8
	s_addc_u32 s15, s1, 0
.LBB0_2:                                ; =>This Inner Loop Header: Depth=1
	s_load_dwordx2 s[18:19], s[14:15], 0x0
                                        ; implicit-def: $vgpr7_vgpr8
	s_mov_b32 s0, exec_lo
	s_waitcnt lgkmcnt(0)
	v_or_b32_e32 v4, s19, v6
	v_cmpx_ne_u64_e32 0, v[3:4]
	s_xor_b32 s1, exec_lo, s0
	s_cbranch_execz .LBB0_4
; %bb.3:                                ;   in Loop: Header=BB0_2 Depth=1
	v_cvt_f32_u32_e32 v4, s18
	v_cvt_f32_u32_e32 v7, s19
	s_sub_u32 s0, 0, s18
	s_subb_u32 s20, 0, s19
	v_fmac_f32_e32 v4, 0x4f800000, v7
	v_rcp_f32_e32 v4, v4
	v_mul_f32_e32 v4, 0x5f7ffffc, v4
	v_mul_f32_e32 v7, 0x2f800000, v4
	v_trunc_f32_e32 v7, v7
	v_fmac_f32_e32 v4, 0xcf800000, v7
	v_cvt_u32_f32_e32 v7, v7
	v_cvt_u32_f32_e32 v4, v4
	v_mul_lo_u32 v8, s0, v7
	v_mul_hi_u32 v9, s0, v4
	v_mul_lo_u32 v10, s20, v4
	v_add_nc_u32_e32 v8, v9, v8
	v_mul_lo_u32 v9, s0, v4
	v_add_nc_u32_e32 v8, v8, v10
	v_mul_hi_u32 v10, v4, v9
	v_mul_lo_u32 v11, v4, v8
	v_mul_hi_u32 v12, v4, v8
	v_mul_hi_u32 v13, v7, v9
	v_mul_lo_u32 v9, v7, v9
	v_mul_hi_u32 v14, v7, v8
	v_mul_lo_u32 v8, v7, v8
	v_add_co_u32 v10, vcc_lo, v10, v11
	v_add_co_ci_u32_e32 v11, vcc_lo, 0, v12, vcc_lo
	v_add_co_u32 v9, vcc_lo, v10, v9
	v_add_co_ci_u32_e32 v9, vcc_lo, v11, v13, vcc_lo
	v_add_co_ci_u32_e32 v10, vcc_lo, 0, v14, vcc_lo
	v_add_co_u32 v8, vcc_lo, v9, v8
	v_add_co_ci_u32_e32 v9, vcc_lo, 0, v10, vcc_lo
	v_add_co_u32 v4, vcc_lo, v4, v8
	v_add_co_ci_u32_e32 v7, vcc_lo, v7, v9, vcc_lo
	v_mul_hi_u32 v8, s0, v4
	v_mul_lo_u32 v10, s20, v4
	v_mul_lo_u32 v9, s0, v7
	v_add_nc_u32_e32 v8, v8, v9
	v_mul_lo_u32 v9, s0, v4
	v_add_nc_u32_e32 v8, v8, v10
	v_mul_hi_u32 v10, v4, v9
	v_mul_lo_u32 v11, v4, v8
	v_mul_hi_u32 v12, v4, v8
	v_mul_hi_u32 v13, v7, v9
	v_mul_lo_u32 v9, v7, v9
	v_mul_hi_u32 v14, v7, v8
	v_mul_lo_u32 v8, v7, v8
	v_add_co_u32 v10, vcc_lo, v10, v11
	v_add_co_ci_u32_e32 v11, vcc_lo, 0, v12, vcc_lo
	v_add_co_u32 v9, vcc_lo, v10, v9
	v_add_co_ci_u32_e32 v9, vcc_lo, v11, v13, vcc_lo
	v_add_co_ci_u32_e32 v10, vcc_lo, 0, v14, vcc_lo
	v_add_co_u32 v8, vcc_lo, v9, v8
	v_add_co_ci_u32_e32 v9, vcc_lo, 0, v10, vcc_lo
	v_add_co_u32 v4, vcc_lo, v4, v8
	v_add_co_ci_u32_e32 v11, vcc_lo, v7, v9, vcc_lo
	v_mul_hi_u32 v13, v5, v4
	v_mad_u64_u32 v[9:10], null, v6, v4, 0
	v_mad_u64_u32 v[7:8], null, v5, v11, 0
	;; [unrolled: 1-line block ×3, first 2 shown]
	v_add_co_u32 v4, vcc_lo, v13, v7
	v_add_co_ci_u32_e32 v7, vcc_lo, 0, v8, vcc_lo
	v_add_co_u32 v4, vcc_lo, v4, v9
	v_add_co_ci_u32_e32 v4, vcc_lo, v7, v10, vcc_lo
	v_add_co_ci_u32_e32 v7, vcc_lo, 0, v12, vcc_lo
	v_add_co_u32 v4, vcc_lo, v4, v11
	v_add_co_ci_u32_e32 v9, vcc_lo, 0, v7, vcc_lo
	v_mul_lo_u32 v10, s19, v4
	v_mad_u64_u32 v[7:8], null, s18, v4, 0
	v_mul_lo_u32 v11, s18, v9
	v_sub_co_u32 v7, vcc_lo, v5, v7
	v_add3_u32 v8, v8, v11, v10
	v_sub_nc_u32_e32 v10, v6, v8
	v_subrev_co_ci_u32_e64 v10, s0, s19, v10, vcc_lo
	v_add_co_u32 v11, s0, v4, 2
	v_add_co_ci_u32_e64 v12, s0, 0, v9, s0
	v_sub_co_u32 v13, s0, v7, s18
	v_sub_co_ci_u32_e32 v8, vcc_lo, v6, v8, vcc_lo
	v_subrev_co_ci_u32_e64 v10, s0, 0, v10, s0
	v_cmp_le_u32_e32 vcc_lo, s18, v13
	v_cmp_eq_u32_e64 s0, s19, v8
	v_cndmask_b32_e64 v13, 0, -1, vcc_lo
	v_cmp_le_u32_e32 vcc_lo, s19, v10
	v_cndmask_b32_e64 v14, 0, -1, vcc_lo
	v_cmp_le_u32_e32 vcc_lo, s18, v7
	;; [unrolled: 2-line block ×3, first 2 shown]
	v_cndmask_b32_e64 v15, 0, -1, vcc_lo
	v_cmp_eq_u32_e32 vcc_lo, s19, v10
	v_cndmask_b32_e64 v7, v15, v7, s0
	v_cndmask_b32_e32 v10, v14, v13, vcc_lo
	v_add_co_u32 v13, vcc_lo, v4, 1
	v_add_co_ci_u32_e32 v14, vcc_lo, 0, v9, vcc_lo
	v_cmp_ne_u32_e32 vcc_lo, 0, v10
	v_cndmask_b32_e32 v8, v14, v12, vcc_lo
	v_cndmask_b32_e32 v10, v13, v11, vcc_lo
	v_cmp_ne_u32_e32 vcc_lo, 0, v7
	v_cndmask_b32_e32 v8, v9, v8, vcc_lo
	v_cndmask_b32_e32 v7, v4, v10, vcc_lo
.LBB0_4:                                ;   in Loop: Header=BB0_2 Depth=1
	s_andn2_saveexec_b32 s0, s1
	s_cbranch_execz .LBB0_6
; %bb.5:                                ;   in Loop: Header=BB0_2 Depth=1
	v_cvt_f32_u32_e32 v4, s18
	s_sub_i32 s1, 0, s18
	v_rcp_iflag_f32_e32 v4, v4
	v_mul_f32_e32 v4, 0x4f7ffffe, v4
	v_cvt_u32_f32_e32 v4, v4
	v_mul_lo_u32 v7, s1, v4
	v_mul_hi_u32 v7, v4, v7
	v_add_nc_u32_e32 v4, v4, v7
	v_mul_hi_u32 v4, v5, v4
	v_mul_lo_u32 v7, v4, s18
	v_add_nc_u32_e32 v8, 1, v4
	v_sub_nc_u32_e32 v7, v5, v7
	v_subrev_nc_u32_e32 v9, s18, v7
	v_cmp_le_u32_e32 vcc_lo, s18, v7
	v_cndmask_b32_e32 v7, v7, v9, vcc_lo
	v_cndmask_b32_e32 v4, v4, v8, vcc_lo
	v_cmp_le_u32_e32 vcc_lo, s18, v7
	v_add_nc_u32_e32 v8, 1, v4
	v_cndmask_b32_e32 v7, v4, v8, vcc_lo
	v_mov_b32_e32 v8, v3
.LBB0_6:                                ;   in Loop: Header=BB0_2 Depth=1
	s_or_b32 exec_lo, exec_lo, s0
	s_load_dwordx2 s[0:1], s[6:7], 0x0
	v_mul_lo_u32 v4, v8, s18
	v_mul_lo_u32 v11, v7, s19
	v_mad_u64_u32 v[9:10], null, v7, s18, 0
	s_add_u32 s16, s16, 1
	s_addc_u32 s17, s17, 0
	s_add_u32 s6, s6, 8
	s_addc_u32 s7, s7, 0
	;; [unrolled: 2-line block ×3, first 2 shown]
	v_add3_u32 v4, v10, v11, v4
	v_sub_co_u32 v5, vcc_lo, v5, v9
	v_sub_co_ci_u32_e32 v4, vcc_lo, v6, v4, vcc_lo
	s_waitcnt lgkmcnt(0)
	v_mul_lo_u32 v6, s1, v5
	v_mul_lo_u32 v4, s0, v4
	v_mad_u64_u32 v[1:2], null, s0, v5, v[1:2]
	v_cmp_ge_u64_e64 s0, s[16:17], s[10:11]
	s_and_b32 vcc_lo, exec_lo, s0
	v_add3_u32 v2, v6, v2, v4
	s_cbranch_vccnz .LBB0_9
; %bb.7:                                ;   in Loop: Header=BB0_2 Depth=1
	v_mov_b32_e32 v5, v7
	v_mov_b32_e32 v6, v8
	s_branch .LBB0_2
.LBB0_8:
	v_mov_b32_e32 v8, v6
	v_mov_b32_e32 v7, v5
.LBB0_9:
	s_lshl_b64 s[0:1], s[10:11], 3
	v_mul_hi_u32 v5, 0x10db20b, v0
	s_add_u32 s0, s12, s0
	s_addc_u32 s1, s13, s1
                                        ; implicit-def: $vgpr14_vgpr15
                                        ; implicit-def: $vgpr30_vgpr31
                                        ; implicit-def: $vgpr22_vgpr23
                                        ; implicit-def: $vgpr18_vgpr19
                                        ; implicit-def: $vgpr34_vgpr35
                                        ; implicit-def: $vgpr26_vgpr27
                                        ; implicit-def: $vgpr10_vgpr11
	s_load_dwordx2 s[0:1], s[0:1], 0x0
	s_load_dwordx2 s[4:5], s[4:5], 0x20
	s_waitcnt lgkmcnt(0)
	v_mul_lo_u32 v3, s0, v8
	v_mul_lo_u32 v4, s1, v7
	v_mad_u64_u32 v[1:2], null, s0, v7, v[1:2]
	v_cmp_gt_u64_e32 vcc_lo, s[4:5], v[7:8]
                                        ; implicit-def: $vgpr6_vgpr7
	v_add3_u32 v2, v4, v2, v3
	v_mul_u32_u24_e32 v3, 0xf3, v5
	v_lshlrev_b64 v[36:37], 4, v[1:2]
	v_sub_nc_u32_e32 v38, v0, v3
                                        ; implicit-def: $vgpr2_vgpr3
	s_and_saveexec_b32 s1, vcc_lo
	s_cbranch_execz .LBB0_11
; %bb.10:
	v_mov_b32_e32 v39, 0
	v_add_co_u32 v2, s0, s2, v36
	v_add_co_ci_u32_e64 v3, s0, s3, v37, s0
	v_lshlrev_b64 v[0:1], 4, v[38:39]
	v_add_co_u32 v12, s0, v2, v0
	v_add_co_ci_u32_e64 v13, s0, v3, v1, s0
	v_add_co_u32 v0, s0, 0x2800, v12
	v_add_co_ci_u32_e64 v1, s0, 0, v13, s0
	;; [unrolled: 2-line block ×8, first 2 shown]
	s_clause 0x3
	global_load_dwordx4 v[8:11], v[12:13], off
	global_load_dwordx4 v[24:27], v[0:1], off offset:1424
	global_load_dwordx4 v[0:3], v[2:3], off offset:800
	;; [unrolled: 1-line block ×3, first 2 shown]
	v_add_co_u32 v12, s0, 0x7800, v12
	v_add_co_ci_u32_e64 v13, s0, 0, v13, s0
	s_clause 0x4
	global_load_dwordx4 v[32:35], v[14:15], off offset:1216
	global_load_dwordx4 v[16:19], v[16:17], off offset:592
	global_load_dwordx4 v[20:23], v[20:21], off offset:1632
	global_load_dwordx4 v[28:31], v[28:29], off offset:1008
	global_load_dwordx4 v[12:15], v[12:13], off offset:384
.LBB0_11:
	s_or_b32 exec_lo, exec_lo, s1
	s_waitcnt vmcnt(6)
	v_add_f64 v[39:40], v[0:1], v[24:25]
	s_waitcnt vmcnt(3)
	v_add_f64 v[41:42], v[16:17], v[32:33]
	;; [unrolled: 2-line block ×3, first 2 shown]
	v_add_f64 v[45:46], v[2:3], v[26:27]
	v_add_f64 v[47:48], v[18:19], v[34:35]
	;; [unrolled: 1-line block ×5, first 2 shown]
	v_add_f64 v[26:27], v[26:27], -v[2:3]
	v_add_f64 v[55:56], v[24:25], -v[0:1]
	v_add_f64 v[24:25], v[32:33], v[4:5]
	v_add_f64 v[57:58], v[34:35], v[6:7]
	v_add_f64 v[34:35], v[34:35], -v[18:19]
	v_add_f64 v[59:60], v[28:29], v[20:21]
	v_mad_u32_u24 v61, v38, 24, 0
	v_add_f64 v[32:33], v[32:33], -v[16:17]
	v_add_f64 v[28:29], v[28:29], -v[12:13]
	s_mov_b32 s4, 0xe8584caa
	s_mov_b32 s5, 0xbfebb67a
	;; [unrolled: 1-line block ×4, first 2 shown]
	v_fma_f64 v[8:9], v[39:40], -0.5, v[8:9]
	v_fma_f64 v[39:40], v[41:42], -0.5, v[4:5]
	v_add_f64 v[41:42], v[30:31], -v[14:15]
	v_fma_f64 v[43:44], v[43:44], -0.5, v[20:21]
	v_fma_f64 v[10:11], v[45:46], -0.5, v[10:11]
	v_lshlrev_b32_e32 v5, 4, v38
	v_fma_f64 v[45:46], v[49:50], -0.5, v[22:23]
	v_add_f64 v[30:31], v[30:31], v[22:23]
	v_add_f64 v[0:1], v[0:1], v[51:52]
	;; [unrolled: 1-line block ×3, first 2 shown]
	v_sub_nc_u32_e32 v20, v61, v5
	v_fma_f64 v[5:6], v[47:48], -0.5, v[6:7]
	v_add_f64 v[16:17], v[16:17], v[24:25]
	v_add_f64 v[12:13], v[12:13], v[59:60]
	v_and_b32_e32 v4, 0xff, v38
	v_add_f64 v[18:19], v[18:19], v[57:58]
	v_add_nc_u32_e32 v59, 0x16c8, v61
	v_add_nc_u32_e32 v60, 0x2d90, v61
	;; [unrolled: 1-line block ×6, first 2 shown]
	v_fma_f64 v[47:48], v[26:27], s[4:5], v[8:9]
	v_fma_f64 v[7:8], v[26:27], s[6:7], v[8:9]
	;; [unrolled: 1-line block ×7, first 2 shown]
	v_mul_lo_u16 v27, 0xab, v4
	v_fma_f64 v[49:50], v[55:56], s[4:5], v[10:11]
	v_fma_f64 v[53:54], v[28:29], s[6:7], v[45:46]
	;; [unrolled: 1-line block ×5, first 2 shown]
	v_add_f64 v[30:31], v[14:15], v[30:31]
	v_lshrrev_b16 v73, 9, v27
	ds_write2_b64 v61, v[0:1], v[47:48] offset1:1
	ds_write_b64 v61, v[7:8] offset:16
	ds_write2_b64 v59, v[16:17], v[25:26] offset1:1
	ds_write_b64 v61, v[34:35] offset:5848
	;; [unrolled: 2-line block ×3, first 2 shown]
	v_mul_lo_u16 v0, v73, 3
	v_mov_b32_e32 v1, 0xaaab
	s_waitcnt lgkmcnt(0)
	s_barrier
	buffer_gl0_inv
	ds_read2_b64 v[5:8], v20 offset1:243
	ds_read2_b64 v[9:12], v23 offset0:6 offset1:249
	ds_read2_b64 v[13:16], v22 offset0:2 offset1:245
	;; [unrolled: 1-line block ×3, first 2 shown]
	ds_read_b64 v[67:68], v20 offset:15552
	s_waitcnt lgkmcnt(0)
	s_barrier
	buffer_gl0_inv
	ds_write2_b64 v61, v[2:3], v[43:44] offset1:1
	v_sub_nc_u16 v3, v38, v0
	v_mov_b32_e32 v0, 5
	v_mul_u32_u24_sdwa v17, v24, v1 dst_sel:DWORD dst_unused:UNUSED_PAD src0_sel:WORD_0 src1_sel:DWORD
	ds_write_b64 v61, v[49:50] offset:16
	ds_write2_b64 v59, v[18:19], v[51:52] offset1:1
	ds_write_b64 v61, v[32:33] offset:5848
	ds_write2_b64 v60, v[30:31], v[53:54] offset1:1
	ds_write_b64 v61, v[45:46] offset:11680
	s_waitcnt lgkmcnt(0)
	v_lshlrev_b32_sdwa v2, v0, v3 dst_sel:DWORD dst_unused:UNUSED_PAD src0_sel:DWORD src1_sel:BYTE_0
	v_lshrrev_b32_e32 v19, 17, v17
	s_barrier
	buffer_gl0_inv
	v_add_nc_u32_e32 v25, 0x1e6, v38
	global_load_dwordx4 v[30:33], v2, s[8:9] offset:16
	v_mul_lo_u16 v17, v19, 3
	v_mul_u32_u24_e32 v19, 0x48, v19
	v_mul_u32_u24_sdwa v1, v25, v1 dst_sel:DWORD dst_unused:UNUSED_PAD src0_sel:WORD_0 src1_sel:DWORD
	v_sub_nc_u16 v74, v24, v17
	v_lshrrev_b32_e32 v75, 17, v1
	v_lshlrev_b32_sdwa v17, v0, v74 dst_sel:DWORD dst_unused:UNUSED_PAD src0_sel:DWORD src1_sel:WORD_0
	v_mul_lo_u16 v1, v75, 3
	s_clause 0x2
	global_load_dwordx4 v[39:42], v17, s[8:9] offset:16
	global_load_dwordx4 v[43:46], v17, s[8:9]
	global_load_dwordx4 v[47:50], v2, s[8:9]
	v_sub_nc_u16 v76, v25, v1
	v_lshlrev_b32_sdwa v1, v0, v76 dst_sel:DWORD dst_unused:UNUSED_PAD src0_sel:DWORD src1_sel:WORD_0
	s_clause 0x1
	global_load_dwordx4 v[51:54], v1, s[8:9]
	global_load_dwordx4 v[55:58], v1, s[8:9] offset:16
	ds_read2_b64 v[59:62], v22 offset0:2 offset1:245
	s_waitcnt vmcnt(5) lgkmcnt(0)
	v_mul_f64 v[1:2], v[59:60], v[32:33]
	v_mul_f64 v[17:18], v[13:14], v[32:33]
	ds_read2_b64 v[32:35], v21 offset0:12 offset1:255
	s_waitcnt vmcnt(4)
	v_mul_f64 v[69:70], v[61:62], v[41:42]
	v_mul_f64 v[41:42], v[15:16], v[41:42]
	v_fma_f64 v[71:72], v[13:14], v[30:31], v[1:2]
	ds_read2_b64 v[63:66], v23 offset0:6 offset1:249
	ds_read_b64 v[1:2], v20 offset:15552
	v_fma_f64 v[17:18], v[59:60], v[30:31], -v[17:18]
	s_waitcnt vmcnt(3) lgkmcnt(2)
	v_mul_f64 v[13:14], v[32:33], v[45:46]
	v_mul_f64 v[45:46], v[26:27], v[45:46]
	v_fma_f64 v[15:16], v[15:16], v[39:40], v[69:70]
	v_fma_f64 v[39:40], v[61:62], v[39:40], -v[41:42]
	s_waitcnt vmcnt(2)
	v_mul_f64 v[41:42], v[11:12], v[49:50]
	v_mov_b32_e32 v61, 0xe38f
	s_waitcnt lgkmcnt(1)
	v_mul_f64 v[30:31], v[65:66], v[49:50]
	s_waitcnt vmcnt(1)
	v_mul_f64 v[49:50], v[34:35], v[53:54]
	s_waitcnt vmcnt(0) lgkmcnt(0)
	v_mul_f64 v[59:60], v[1:2], v[57:58]
	v_mov_b32_e32 v62, 0x48
	v_fma_f64 v[26:27], v[26:27], v[43:44], v[13:14]
	v_fma_f64 v[32:33], v[32:33], v[43:44], -v[45:46]
	v_mul_u32_u24_sdwa v62, v73, v62 dst_sel:DWORD dst_unused:UNUSED_PAD src0_sel:WORD_0 src1_sel:DWORD
	v_fma_f64 v[41:42], v[65:66], v[47:48], -v[41:42]
	v_fma_f64 v[30:31], v[11:12], v[47:48], v[30:31]
	v_mul_f64 v[47:48], v[28:29], v[53:54]
	v_mul_f64 v[53:54], v[67:68], v[57:58]
	v_fma_f64 v[28:29], v[28:29], v[51:52], v[49:50]
	v_fma_f64 v[43:44], v[67:68], v[55:56], v[59:60]
	v_add_f64 v[49:50], v[26:27], v[15:16]
	ds_read2_b64 v[11:14], v20 offset1:243
	v_add_f64 v[59:60], v[7:8], v[26:27]
	v_mul_u32_u24_sdwa v57, v24, v61 dst_sel:DWORD dst_unused:UNUSED_PAD src0_sel:WORD_0 src1_sel:DWORD
	v_add_f64 v[26:27], v[26:27], -v[15:16]
	v_mul_u32_u24_e32 v67, 0x48, v75
	s_waitcnt lgkmcnt(0)
	s_barrier
	buffer_gl0_inv
	v_add_f64 v[45:46], v[30:31], v[71:72]
	v_fma_f64 v[34:35], v[34:35], v[51:52], -v[47:48]
	v_fma_f64 v[47:48], v[1:2], v[55:56], -v[53:54]
	v_add_f64 v[51:52], v[41:42], v[17:18]
	v_add_f64 v[53:54], v[32:33], v[39:40]
	;; [unrolled: 1-line block ×3, first 2 shown]
	v_fma_f64 v[7:8], v[49:50], -0.5, v[7:8]
	v_mul_lo_u16 v2, v4, 57
	v_add_f64 v[15:16], v[59:60], v[15:16]
	v_mov_b32_e32 v1, 3
	v_lshrrev_b16 v77, 9, v2
	v_lshrrev_b32_e32 v2, 19, v57
	v_add_f64 v[57:58], v[5:6], v[30:31]
	v_add_f64 v[30:31], v[30:31], -v[71:72]
	v_lshlrev_b32_sdwa v3, v1, v3 dst_sel:DWORD dst_unused:UNUSED_PAD src0_sel:DWORD src1_sel:BYTE_0
	v_mul_lo_u16 v65, v77, 9
	v_mul_lo_u16 v66, v2, 9
	v_add3_u32 v3, 0, v62, v3
	v_fma_f64 v[5:6], v[45:46], -0.5, v[5:6]
	v_add_f64 v[45:46], v[11:12], v[41:42]
	v_add_f64 v[49:50], v[34:35], v[47:48]
	v_fma_f64 v[11:12], v[51:52], -0.5, v[11:12]
	v_fma_f64 v[51:52], v[53:54], -0.5, v[13:14]
	v_add_f64 v[53:54], v[9:10], v[28:29]
	v_add_f64 v[41:42], v[41:42], -v[17:18]
	v_add_f64 v[13:14], v[13:14], v[32:33]
	v_add_f64 v[32:33], v[32:33], -v[39:40]
	v_fma_f64 v[9:10], v[55:56], -0.5, v[9:10]
	v_add_f64 v[55:56], v[34:35], -v[47:48]
	v_add_f64 v[34:35], v[63:64], v[34:35]
	v_add_f64 v[28:29], v[28:29], -v[43:44]
	v_sub_nc_u16 v73, v38, v65
	v_add_f64 v[57:58], v[57:58], v[71:72]
	v_lshlrev_b32_sdwa v65, v1, v74 dst_sel:DWORD dst_unused:UNUSED_PAD src0_sel:DWORD src1_sel:WORD_0
	v_sub_nc_u16 v75, v24, v66
	v_lshlrev_b32_sdwa v66, v1, v76 dst_sel:DWORD dst_unused:UNUSED_PAD src0_sel:DWORD src1_sel:WORD_0
	v_lshlrev_b32_sdwa v59, v0, v73 dst_sel:DWORD dst_unused:UNUSED_PAD src0_sel:DWORD src1_sel:BYTE_0
	v_add3_u32 v19, 0, v19, v65
	v_add3_u32 v60, 0, v67, v66
	v_add_f64 v[17:18], v[45:46], v[17:18]
	v_fma_f64 v[49:50], v[49:50], -0.5, v[63:64]
	v_fma_f64 v[45:46], v[30:31], s[6:7], v[11:12]
	v_fma_f64 v[30:31], v[30:31], s[4:5], v[11:12]
	v_add_f64 v[43:44], v[53:54], v[43:44]
	v_fma_f64 v[53:54], v[41:42], s[4:5], v[5:6]
	v_fma_f64 v[5:6], v[41:42], s[6:7], v[5:6]
	;; [unrolled: 1-line block ×3, first 2 shown]
	v_add_f64 v[39:40], v[13:14], v[39:40]
	v_fma_f64 v[7:8], v[32:33], s[6:7], v[7:8]
	v_add_f64 v[34:35], v[34:35], v[47:48]
	v_fma_f64 v[47:48], v[26:27], s[6:7], v[51:52]
	v_fma_f64 v[51:52], v[26:27], s[4:5], v[51:52]
	;; [unrolled: 1-line block ×4, first 2 shown]
	ds_write2_b64 v3, v[57:58], v[53:54] offset1:3
	ds_write_b64 v3, v[5:6] offset:48
	ds_write2_b64 v19, v[15:16], v[41:42] offset1:3
	ds_write_b64 v19, v[7:8] offset:48
	;; [unrolled: 2-line block ×3, first 2 shown]
	v_fma_f64 v[55:56], v[28:29], s[6:7], v[49:50]
	v_fma_f64 v[49:50], v[28:29], s[4:5], v[49:50]
	s_waitcnt lgkmcnt(0)
	s_barrier
	buffer_gl0_inv
	ds_read2_b64 v[5:8], v20 offset1:243
	ds_read2_b64 v[9:12], v23 offset0:6 offset1:249
	ds_read2_b64 v[13:16], v22 offset0:2 offset1:245
	;; [unrolled: 1-line block ×3, first 2 shown]
	ds_read_b64 v[67:68], v20 offset:15552
	s_waitcnt lgkmcnt(0)
	s_barrier
	buffer_gl0_inv
	ds_write2_b64 v3, v[17:18], v[45:46] offset1:3
	ds_write_b64 v3, v[30:31] offset:48
	ds_write2_b64 v19, v[39:40], v[47:48] offset1:3
	ds_write_b64 v19, v[51:52] offset:48
	;; [unrolled: 2-line block ×3, first 2 shown]
	s_waitcnt lgkmcnt(0)
	s_barrier
	buffer_gl0_inv
	s_clause 0x1
	global_load_dwordx4 v[30:33], v59, s[8:9] offset:112
	global_load_dwordx4 v[47:50], v59, s[8:9] offset:96
	v_lshlrev_b32_sdwa v3, v0, v75 dst_sel:DWORD dst_unused:UNUSED_PAD src0_sel:DWORD src1_sel:WORD_0
	v_mul_u32_u24_sdwa v17, v25, v61 dst_sel:DWORD dst_unused:UNUSED_PAD src0_sel:WORD_0 src1_sel:DWORD
	s_clause 0x1
	global_load_dwordx4 v[39:42], v3, s[8:9] offset:112
	global_load_dwordx4 v[43:46], v3, s[8:9] offset:96
	v_lshrrev_b32_e32 v3, 19, v17
	v_mul_lo_u16 v17, v3, 9
	v_mul_u32_u24_e32 v71, 0xd8, v3
	v_sub_nc_u16 v19, v25, v17
	v_lshlrev_b32_sdwa v17, v0, v19 dst_sel:DWORD dst_unused:UNUSED_PAD src0_sel:DWORD src1_sel:WORD_0
	s_clause 0x1
	global_load_dwordx4 v[51:54], v17, s[8:9] offset:96
	global_load_dwordx4 v[55:58], v17, s[8:9] offset:112
	ds_read2_b64 v[59:62], v22 offset0:2 offset1:245
	v_lshlrev_b32_sdwa v19, v1, v19 dst_sel:DWORD dst_unused:UNUSED_PAD src0_sel:DWORD src1_sel:WORD_0
	v_add3_u32 v19, 0, v71, v19
	s_waitcnt vmcnt(5) lgkmcnt(0)
	v_mul_f64 v[17:18], v[59:60], v[32:33]
	v_mul_f64 v[63:64], v[13:14], v[32:33]
	ds_read2_b64 v[32:35], v21 offset0:12 offset1:255
	s_waitcnt vmcnt(3)
	v_mul_f64 v[69:70], v[61:62], v[41:42]
	v_mul_f64 v[41:42], v[15:16], v[41:42]
	v_fma_f64 v[17:18], v[13:14], v[30:31], v[17:18]
	v_fma_f64 v[30:31], v[59:60], v[30:31], -v[63:64]
	ds_read2_b64 v[63:66], v23 offset0:6 offset1:249
	s_waitcnt vmcnt(2) lgkmcnt(1)
	v_mul_f64 v[13:14], v[32:33], v[45:46]
	v_mul_f64 v[45:46], v[26:27], v[45:46]
	v_fma_f64 v[15:16], v[15:16], v[39:40], v[69:70]
	v_fma_f64 v[39:40], v[61:62], v[39:40], -v[41:42]
	ds_read_b64 v[41:42], v20 offset:15552
	s_waitcnt vmcnt(1)
	v_mul_f64 v[61:62], v[34:35], v[53:54]
	s_waitcnt lgkmcnt(1)
	v_mul_f64 v[59:60], v[65:66], v[49:50]
	v_mul_f64 v[49:50], v[11:12], v[49:50]
	v_fma_f64 v[26:27], v[26:27], v[43:44], v[13:14]
	v_fma_f64 v[32:33], v[32:33], v[43:44], -v[45:46]
	v_mul_f64 v[43:44], v[28:29], v[53:54]
	s_waitcnt vmcnt(0) lgkmcnt(0)
	v_mul_f64 v[13:14], v[41:42], v[57:58]
	v_fma_f64 v[28:29], v[28:29], v[51:52], v[61:62]
	v_mul_lo_u16 v61, v4, 19
	v_mul_lo_u16 v4, 0xcb, v4
	v_lshrrev_b16 v69, 9, v61
	v_fma_f64 v[45:46], v[11:12], v[47:48], v[59:60]
	v_fma_f64 v[47:48], v[65:66], v[47:48], -v[49:50]
	v_mul_f64 v[49:50], v[67:68], v[57:58]
	v_mov_b32_e32 v59, 0x2f69
	v_mov_b32_e32 v65, 0xd8
	v_fma_f64 v[34:35], v[34:35], v[51:52], -v[43:44]
	v_add_f64 v[51:52], v[26:27], v[15:16]
	v_fma_f64 v[53:54], v[67:68], v[55:56], v[13:14]
	v_mul_u32_u24_sdwa v11, v24, v59 dst_sel:DWORD dst_unused:UNUSED_PAD src0_sel:WORD_0 src1_sel:DWORD
	v_mul_lo_u16 v67, v69, 27
	v_mul_u32_u24_sdwa v66, v25, v59 dst_sel:DWORD dst_unused:UNUSED_PAD src0_sel:WORD_0 src1_sel:DWORD
	v_mul_u32_u24_sdwa v65, v77, v65 dst_sel:DWORD dst_unused:UNUSED_PAD src0_sel:WORD_0 src1_sel:DWORD
	v_lshrrev_b32_e32 v60, 16, v11
	ds_read2_b64 v[11:14], v20 offset1:243
	v_sub_nc_u16 v72, v38, v67
	v_lshlrev_b32_sdwa v67, v1, v73 dst_sel:DWORD dst_unused:UNUSED_PAD src0_sel:DWORD src1_sel:BYTE_0
	v_lshlrev_b32_sdwa v73, v1, v75 dst_sel:DWORD dst_unused:UNUSED_PAD src0_sel:DWORD src1_sel:WORD_0
	v_sub_nc_u16 v62, v24, v60
	s_waitcnt lgkmcnt(0)
	v_lshlrev_b32_sdwa v74, v0, v72 dst_sel:DWORD dst_unused:UNUSED_PAD src0_sel:DWORD src1_sel:BYTE_0
	s_barrier
	v_add_f64 v[43:44], v[45:46], v[17:18]
	v_lshrrev_b16 v61, 1, v62
	v_fma_f64 v[41:42], v[41:42], v[55:56], -v[49:50]
	v_add_f64 v[49:50], v[47:48], v[30:31]
	v_add_f64 v[55:56], v[32:33], v[39:40]
	buffer_gl0_inv
	v_add_nc_u16 v68, v61, v60
	v_add_f64 v[57:58], v[28:29], v[53:54]
	v_add_f64 v[61:62], v[7:8], v[26:27]
	v_fma_f64 v[7:8], v[51:52], -0.5, v[7:8]
	v_add_f64 v[59:60], v[5:6], v[45:46]
	v_lshrrev_b16 v70, 4, v68
	v_mul_u32_u24_e32 v68, 0xd8, v2
	v_add_f64 v[26:27], v[26:27], -v[15:16]
	v_mul_lo_u16 v2, v70, 27
	v_sub_nc_u16 v75, v24, v2
	v_fma_f64 v[5:6], v[43:44], -0.5, v[5:6]
	v_add_f64 v[43:44], v[11:12], v[47:48]
	v_add_f64 v[51:52], v[34:35], v[41:42]
	v_fma_f64 v[11:12], v[49:50], -0.5, v[11:12]
	v_fma_f64 v[49:50], v[55:56], -0.5, v[13:14]
	v_add_f64 v[55:56], v[9:10], v[28:29]
	v_add_f64 v[47:48], v[47:48], -v[30:31]
	v_fma_f64 v[9:10], v[57:58], -0.5, v[9:10]
	v_add_f64 v[57:58], v[34:35], -v[41:42]
	v_add_f64 v[2:3], v[63:64], v[34:35]
	v_add_f64 v[34:35], v[45:46], -v[17:18]
	v_add_f64 v[13:14], v[13:14], v[32:33]
	v_add_f64 v[32:33], v[32:33], -v[39:40]
	v_add_f64 v[28:29], v[28:29], -v[53:54]
	v_add_f64 v[17:18], v[59:60], v[17:18]
	v_add_f64 v[15:16], v[61:62], v[15:16]
	v_lshlrev_b32_sdwa v59, v0, v75 dst_sel:DWORD dst_unused:UNUSED_PAD src0_sel:DWORD src1_sel:WORD_0
	v_add_f64 v[30:31], v[43:44], v[30:31]
	v_fma_f64 v[45:46], v[51:52], -0.5, v[63:64]
	v_fma_f64 v[43:44], v[26:27], s[6:7], v[49:50]
	v_add_f64 v[51:52], v[55:56], v[53:54]
	v_fma_f64 v[53:54], v[47:48], s[4:5], v[5:6]
	v_fma_f64 v[5:6], v[47:48], s[6:7], v[5:6]
	v_fma_f64 v[49:50], v[26:27], s[4:5], v[49:50]
	v_add_f64 v[2:3], v[2:3], v[41:42]
	v_fma_f64 v[41:42], v[34:35], s[6:7], v[11:12]
	v_fma_f64 v[34:35], v[34:35], s[4:5], v[11:12]
	;; [unrolled: 4-line block ×3, first 2 shown]
	v_fma_f64 v[9:10], v[57:58], s[6:7], v[9:10]
	v_add3_u32 v57, 0, v65, v67
	v_add3_u32 v58, 0, v68, v73
	ds_write2_b64 v57, v[17:18], v[53:54] offset1:9
	ds_write_b64 v57, v[5:6] offset:144
	ds_write2_b64 v58, v[15:16], v[47:48] offset1:9
	ds_write_b64 v58, v[7:8] offset:144
	;; [unrolled: 2-line block ×3, first 2 shown]
	v_fma_f64 v[55:56], v[28:29], s[6:7], v[45:46]
	v_fma_f64 v[45:46], v[28:29], s[4:5], v[45:46]
	s_waitcnt lgkmcnt(0)
	s_barrier
	buffer_gl0_inv
	ds_read2_b64 v[5:8], v20 offset1:243
	ds_read2_b64 v[9:12], v23 offset0:6 offset1:249
	ds_read2_b64 v[13:16], v22 offset0:2 offset1:245
	;; [unrolled: 1-line block ×3, first 2 shown]
	ds_read_b64 v[17:18], v20 offset:15552
	s_waitcnt lgkmcnt(0)
	s_barrier
	buffer_gl0_inv
	ds_write2_b64 v57, v[30:31], v[41:42] offset1:9
	ds_write_b64 v57, v[34:35] offset:144
	ds_write2_b64 v58, v[39:40], v[43:44] offset1:9
	ds_write_b64 v58, v[49:50] offset:144
	;; [unrolled: 2-line block ×3, first 2 shown]
	s_waitcnt lgkmcnt(0)
	s_barrier
	buffer_gl0_inv
	s_clause 0x1
	global_load_dwordx4 v[30:33], v74, s[8:9] offset:400
	global_load_dwordx4 v[39:42], v59, s[8:9] offset:400
	v_lshrrev_b32_e32 v2, 16, v66
	v_lshrrev_b16 v73, 14, v4
	v_sub_nc_u16 v3, v25, v2
	v_lshrrev_b16 v3, 1, v3
	v_add_nc_u16 v2, v3, v2
	v_lshrrev_b16 v19, 4, v2
	v_mul_lo_u16 v2, v19, 27
	v_sub_nc_u16 v71, v25, v2
	v_lshlrev_b32_sdwa v2, v0, v71 dst_sel:DWORD dst_unused:UNUSED_PAD src0_sel:DWORD src1_sel:WORD_0
	s_clause 0x3
	global_load_dwordx4 v[43:46], v59, s[8:9] offset:384
	global_load_dwordx4 v[47:50], v2, s[8:9] offset:384
	;; [unrolled: 1-line block ×4, first 2 shown]
	ds_read2_b64 v[59:62], v22 offset0:2 offset1:245
	v_mul_lo_u16 v74, 0x51, v73
	v_lshlrev_b32_sdwa v71, v1, v71 dst_sel:DWORD dst_unused:UNUSED_PAD src0_sel:DWORD src1_sel:WORD_0
	v_sub_nc_u16 v74, v38, v74
	s_waitcnt vmcnt(5) lgkmcnt(0)
	v_mul_f64 v[2:3], v[59:60], v[32:33]
	v_mul_f64 v[63:64], v[13:14], v[32:33]
	s_waitcnt vmcnt(4)
	v_mul_f64 v[65:66], v[61:62], v[41:42]
	v_mul_f64 v[41:42], v[15:16], v[41:42]
	ds_read2_b64 v[32:35], v21 offset0:12 offset1:255
	v_fma_f64 v[2:3], v[13:14], v[30:31], v[2:3]
	v_fma_f64 v[30:31], v[59:60], v[30:31], -v[63:64]
	ds_read_b64 v[59:60], v20 offset:15552
	v_fma_f64 v[63:64], v[15:16], v[39:40], v[65:66]
	v_fma_f64 v[39:40], v[61:62], v[39:40], -v[41:42]
	ds_read2_b64 v[13:16], v23 offset0:6 offset1:249
	s_waitcnt vmcnt(3) lgkmcnt(2)
	v_mul_f64 v[65:66], v[32:33], v[45:46]
	s_waitcnt vmcnt(2)
	v_mul_f64 v[41:42], v[34:35], v[49:50]
	v_mul_f64 v[45:46], v[26:27], v[45:46]
	s_waitcnt vmcnt(1) lgkmcnt(1)
	v_mul_f64 v[61:62], v[59:60], v[53:54]
	s_waitcnt vmcnt(0) lgkmcnt(0)
	v_mul_f64 v[67:68], v[15:16], v[57:58]
	v_fma_f64 v[26:27], v[26:27], v[43:44], v[65:66]
	v_fma_f64 v[41:42], v[28:29], v[47:48], v[41:42]
	v_mul_f64 v[28:29], v[28:29], v[49:50]
	v_mul_f64 v[49:50], v[11:12], v[57:58]
	v_fma_f64 v[32:33], v[32:33], v[43:44], -v[45:46]
	v_mov_b32_e32 v65, 0x288
	v_fma_f64 v[57:58], v[17:18], v[51:52], v[61:62]
	v_mul_f64 v[17:18], v[17:18], v[53:54]
	v_fma_f64 v[11:12], v[11:12], v[55:56], v[67:68]
	v_mul_u32_u24_sdwa v69, v69, v65 dst_sel:DWORD dst_unused:UNUSED_PAD src0_sel:WORD_0 src1_sel:DWORD
	v_mul_u32_u24_sdwa v70, v70, v65 dst_sel:DWORD dst_unused:UNUSED_PAD src0_sel:WORD_0 src1_sel:DWORD
	;; [unrolled: 1-line block ×3, first 2 shown]
	v_mov_b32_e32 v67, 0x6523
	v_mul_u32_u24_sdwa v68, v24, v67 dst_sel:DWORD dst_unused:UNUSED_PAD src0_sel:WORD_0 src1_sel:DWORD
	v_lshrrev_b32_e32 v76, 21, v68
	v_fma_f64 v[28:29], v[34:35], v[47:48], -v[28:29]
	v_fma_f64 v[43:44], v[15:16], v[55:56], -v[49:50]
	v_add_f64 v[47:48], v[26:27], v[63:64]
	v_add_f64 v[55:56], v[32:33], v[39:40]
	;; [unrolled: 1-line block ×3, first 2 shown]
	v_fma_f64 v[34:35], v[59:60], v[51:52], -v[17:18]
	ds_read2_b64 v[15:18], v20 offset1:243
	v_add_f64 v[45:46], v[11:12], v[2:3]
	v_add_f64 v[51:52], v[5:6], v[11:12]
	v_add_f64 v[61:62], v[32:33], -v[39:40]
	v_lshlrev_b32_sdwa v68, v1, v72 dst_sel:DWORD dst_unused:UNUSED_PAD src0_sel:DWORD src1_sel:BYTE_0
	v_lshlrev_b32_sdwa v72, v1, v75 dst_sel:DWORD dst_unused:UNUSED_PAD src0_sel:DWORD src1_sel:WORD_0
	s_waitcnt lgkmcnt(0)
	s_barrier
	buffer_gl0_inv
	v_add_f64 v[53:54], v[43:44], v[30:31]
	v_add_f64 v[32:33], v[17:18], v[32:33]
	;; [unrolled: 1-line block ×3, first 2 shown]
	v_add_f64 v[65:66], v[28:29], -v[34:35]
	v_fma_f64 v[4:5], v[45:46], -0.5, v[5:6]
	v_fma_f64 v[45:46], v[47:48], -0.5, v[7:8]
	v_add_f64 v[6:7], v[7:8], v[26:27]
	v_add_f64 v[47:48], v[9:10], v[41:42]
	v_fma_f64 v[8:9], v[49:50], -0.5, v[9:10]
	v_add_f64 v[49:50], v[43:44], -v[30:31]
	v_add_f64 v[43:44], v[15:16], v[43:44]
	v_add_f64 v[28:29], v[13:14], v[28:29]
	v_add_f64 v[10:11], v[11:12], -v[2:3]
	v_add_f64 v[26:27], v[26:27], -v[63:64]
	v_fma_f64 v[17:18], v[55:56], -0.5, v[17:18]
	v_add_f64 v[41:42], v[41:42], -v[57:58]
	v_add_f64 v[2:3], v[51:52], v[2:3]
	v_lshlrev_b32_sdwa v55, v0, v74 dst_sel:DWORD dst_unused:UNUSED_PAD src0_sel:DWORD src1_sel:BYTE_0
	v_add3_u32 v56, 0, v69, v68
	v_fma_f64 v[15:16], v[53:54], -0.5, v[15:16]
	v_add_f64 v[32:33], v[32:33], v[39:40]
	v_fma_f64 v[12:13], v[59:60], -0.5, v[13:14]
	v_add_f64 v[6:7], v[6:7], v[63:64]
	v_add_f64 v[47:48], v[47:48], v[57:58]
	v_fma_f64 v[53:54], v[65:66], s[4:5], v[8:9]
	v_fma_f64 v[51:52], v[49:50], s[4:5], v[4:5]
	v_add_f64 v[30:31], v[43:44], v[30:31]
	v_add_f64 v[28:29], v[28:29], v[34:35]
	v_fma_f64 v[4:5], v[49:50], s[6:7], v[4:5]
	v_fma_f64 v[49:50], v[61:62], s[4:5], v[45:46]
	;; [unrolled: 1-line block ×6, first 2 shown]
	v_add3_u32 v57, 0, v70, v72
	v_add3_u32 v58, 0, v19, v71
	v_fma_f64 v[34:35], v[10:11], s[6:7], v[15:16]
	v_fma_f64 v[14:15], v[10:11], s[4:5], v[15:16]
	ds_write2_b64 v56, v[2:3], v[51:52] offset1:27
	ds_write_b64 v56, v[4:5] offset:432
	ds_write2_b64 v57, v[6:7], v[49:50] offset1:27
	ds_write_b64 v57, v[45:46] offset:432
	;; [unrolled: 2-line block ×3, first 2 shown]
	v_fma_f64 v[43:44], v[41:42], s[6:7], v[12:13]
	v_fma_f64 v[41:42], v[41:42], s[4:5], v[12:13]
	s_waitcnt lgkmcnt(0)
	s_barrier
	buffer_gl0_inv
	ds_read2_b64 v[2:5], v20 offset1:243
	ds_read2_b64 v[6:9], v23 offset0:6 offset1:249
	ds_read2_b64 v[10:13], v22 offset0:2 offset1:245
	;; [unrolled: 1-line block ×3, first 2 shown]
	ds_read_b64 v[63:64], v20 offset:15552
	s_waitcnt lgkmcnt(0)
	s_barrier
	buffer_gl0_inv
	ds_write2_b64 v56, v[30:31], v[34:35] offset1:27
	ds_write_b64 v56, v[14:15] offset:432
	ds_write2_b64 v57, v[32:33], v[39:40] offset1:27
	ds_write_b64 v57, v[26:27] offset:432
	;; [unrolled: 2-line block ×3, first 2 shown]
	s_waitcnt lgkmcnt(0)
	s_barrier
	buffer_gl0_inv
	s_clause 0x1
	global_load_dwordx4 v[26:29], v55, s[8:9] offset:1264
	global_load_dwordx4 v[43:46], v55, s[8:9] offset:1248
	v_mul_lo_u16 v14, 0x51, v76
	v_mul_u32_u24_sdwa v15, v25, v67 dst_sel:DWORD dst_unused:UNUSED_PAD src0_sel:WORD_0 src1_sel:DWORD
	v_sub_nc_u16 v69, v24, v14
	v_lshrrev_b32_e32 v70, 21, v15
	v_lshlrev_b32_sdwa v14, v0, v69 dst_sel:DWORD dst_unused:UNUSED_PAD src0_sel:DWORD src1_sel:WORD_0
	v_mul_lo_u16 v15, 0x51, v70
	v_lshlrev_b32_sdwa v69, v1, v69 dst_sel:DWORD dst_unused:UNUSED_PAD src0_sel:DWORD src1_sel:WORD_0
	s_clause 0x1
	global_load_dwordx4 v[30:33], v14, s[8:9] offset:1264
	global_load_dwordx4 v[39:42], v14, s[8:9] offset:1248
	v_sub_nc_u16 v71, v25, v15
	v_lshlrev_b32_sdwa v0, v0, v71 dst_sel:DWORD dst_unused:UNUSED_PAD src0_sel:DWORD src1_sel:WORD_0
	s_clause 0x1
	global_load_dwordx4 v[47:50], v0, s[8:9] offset:1248
	global_load_dwordx4 v[51:54], v0, s[8:9] offset:1264
	ds_read2_b64 v[55:58], v22 offset0:2 offset1:245
	ds_read2_b64 v[59:62], v21 offset0:12 offset1:255
	v_mov_b32_e32 v0, 0xdb3
	v_lshlrev_b32_sdwa v71, v1, v71 dst_sel:DWORD dst_unused:UNUSED_PAD src0_sel:DWORD src1_sel:WORD_0
	v_mul_u32_u24_sdwa v0, v25, v0 dst_sel:DWORD dst_unused:UNUSED_PAD src0_sel:WORD_0 src1_sel:DWORD
	v_lshrrev_b32_e32 v0, 16, v0
	s_waitcnt vmcnt(5) lgkmcnt(1)
	v_mul_f64 v[14:15], v[55:56], v[28:29]
	v_mul_f64 v[28:29], v[10:11], v[28:29]
	s_waitcnt vmcnt(3)
	v_mul_f64 v[65:66], v[57:58], v[32:33]
	v_mul_f64 v[67:68], v[12:13], v[32:33]
	v_fma_f64 v[14:15], v[10:11], v[26:27], v[14:15]
	v_fma_f64 v[28:29], v[55:56], v[26:27], -v[28:29]
	ds_read2_b64 v[32:35], v23 offset0:6 offset1:249
	ds_read_b64 v[55:56], v20 offset:15552
	s_waitcnt vmcnt(2) lgkmcnt(2)
	v_mul_f64 v[10:11], v[59:60], v[41:42]
	v_mul_f64 v[26:27], v[16:17], v[41:42]
	v_fma_f64 v[12:13], v[12:13], v[30:31], v[65:66]
	v_fma_f64 v[30:31], v[57:58], v[30:31], -v[67:68]
	s_waitcnt vmcnt(1)
	v_mul_f64 v[57:58], v[61:62], v[49:50]
	s_waitcnt lgkmcnt(1)
	v_mul_f64 v[41:42], v[34:35], v[45:46]
	v_mul_f64 v[45:46], v[8:9], v[45:46]
	s_waitcnt vmcnt(0) lgkmcnt(0)
	v_mul_f64 v[65:66], v[55:56], v[53:54]
	v_fma_f64 v[67:68], v[16:17], v[39:40], v[10:11]
	v_sub_nc_u16 v10, v25, v0
	v_lshlrev_b32_e32 v16, 1, v38
	v_mov_b32_e32 v17, 0
	v_fma_f64 v[39:40], v[59:60], v[39:40], -v[26:27]
	v_lshrrev_b16 v10, 1, v10
	v_add_nc_u16 v0, v10, v0
	v_lshlrev_b64 v[10:11], 4, v[16:17]
	v_mov_b32_e32 v16, 0x798
	v_lshrrev_b16 v0, 7, v0
	v_fma_f64 v[41:42], v[8:9], v[43:44], v[41:42]
	v_mul_f64 v[8:9], v[18:19], v[49:50]
	v_fma_f64 v[34:35], v[34:35], v[43:44], -v[45:46]
	v_mul_f64 v[43:44], v[63:64], v[53:54]
	v_fma_f64 v[18:19], v[18:19], v[47:48], v[57:58]
	v_fma_f64 v[45:46], v[63:64], v[51:52], v[65:66]
	v_add_co_u32 v26, s0, s8, v10
	v_add_co_ci_u32_e64 v27, s0, s9, v11, s0
	v_mul_lo_u16 v0, 0xf3, v0
	v_add_f64 v[53:54], v[67:68], v[12:13]
	v_add_f64 v[59:60], v[39:40], v[30:31]
	v_mul_u32_u24_e32 v66, 0x798, v70
	v_lshlrev_b32_sdwa v70, v1, v74 dst_sel:DWORD dst_unused:UNUSED_PAD src0_sel:DWORD src1_sel:BYTE_0
	v_sub_nc_u16 v0, v25, v0
	v_mul_u32_u24_sdwa v16, v73, v16 dst_sel:DWORD dst_unused:UNUSED_PAD src0_sel:WORD_0 src1_sel:DWORD
	v_mul_u32_u24_e32 v65, 0x798, v76
	v_and_b32_e32 v75, 0xffff, v0
	v_add3_u32 v16, 0, v16, v70
	v_add_f64 v[49:50], v[41:42], v[14:15]
	v_fma_f64 v[47:48], v[61:62], v[47:48], -v[8:9]
	v_add_f64 v[57:58], v[34:35], v[28:29]
	v_fma_f64 v[43:44], v[55:56], v[51:52], -v[43:44]
	ds_read2_b64 v[8:11], v20 offset1:243
	v_add_f64 v[51:52], v[18:19], v[45:46]
	v_add_f64 v[0:1], v[2:3], v[41:42]
	;; [unrolled: 1-line block ×3, first 2 shown]
	v_add_f64 v[41:42], v[41:42], -v[14:15]
	v_add3_u32 v69, 0, v65, v69
	v_add3_u32 v70, 0, v66, v71
	v_fma_f64 v[4:5], v[53:54], -0.5, v[4:5]
	v_add_f64 v[65:66], v[67:68], -v[12:13]
	v_add_co_u32 v55, s0, 0xf00, v26
	v_lshlrev_b32_e32 v72, 5, v75
	v_add_co_ci_u32_e64 v56, s0, 0, v27, s0
	v_add_co_u32 v63, s0, 0x800, v26
	v_add_co_ci_u32_e64 v64, s0, 0, v27, s0
	v_fma_f64 v[2:3], v[49:50], -0.5, v[2:3]
	v_add_co_u32 v71, s0, s8, v72
	s_waitcnt lgkmcnt(0)
	v_add_f64 v[49:50], v[8:9], v[34:35]
	v_fma_f64 v[8:9], v[57:58], -0.5, v[8:9]
	v_add_f64 v[57:58], v[47:48], v[43:44]
	v_add_f64 v[53:54], v[10:11], v[39:40]
	v_fma_f64 v[10:11], v[59:60], -0.5, v[10:11]
	v_add_f64 v[59:60], v[6:7], v[18:19]
	v_add_f64 v[34:35], v[34:35], -v[28:29]
	v_fma_f64 v[6:7], v[51:52], -0.5, v[6:7]
	v_add_f64 v[51:52], v[47:48], -v[43:44]
	v_add_f64 v[47:48], v[32:33], v[47:48]
	v_add_f64 v[39:40], v[39:40], -v[30:31]
	v_add_f64 v[18:19], v[18:19], -v[45:46]
	v_add_f64 v[0:1], v[0:1], v[14:15]
	v_add_f64 v[12:13], v[61:62], v[12:13]
	v_add_co_ci_u32_e64 v72, null, s9, 0, s0
	s_barrier
	buffer_gl0_inv
	v_add_f64 v[28:29], v[49:50], v[28:29]
	v_fma_f64 v[32:33], v[57:58], -0.5, v[32:33]
	v_add_f64 v[30:31], v[53:54], v[30:31]
	v_fma_f64 v[49:50], v[65:66], s[6:7], v[10:11]
	v_add_f64 v[14:15], v[59:60], v[45:46]
	v_fma_f64 v[45:46], v[34:35], s[4:5], v[2:3]
	v_fma_f64 v[2:3], v[34:35], s[6:7], v[2:3]
	;; [unrolled: 1-line block ×3, first 2 shown]
	v_add_f64 v[43:44], v[47:48], v[43:44]
	v_fma_f64 v[47:48], v[41:42], s[6:7], v[8:9]
	v_fma_f64 v[41:42], v[41:42], s[4:5], v[8:9]
	v_fma_f64 v[34:35], v[39:40], s[4:5], v[4:5]
	v_fma_f64 v[4:5], v[39:40], s[6:7], v[4:5]
	v_fma_f64 v[39:40], v[51:52], s[4:5], v[6:7]
	v_fma_f64 v[6:7], v[51:52], s[6:7], v[6:7]
	v_add_co_u32 v51, s0, 0x800, v71
	v_add_co_ci_u32_e64 v52, s0, 0, v72, s0
	ds_write2_b64 v16, v[0:1], v[45:46] offset1:81
	ds_write_b64 v16, v[2:3] offset:1296
	ds_write2_b64 v69, v[12:13], v[34:35] offset1:81
	ds_write_b64 v69, v[4:5] offset:1296
	;; [unrolled: 2-line block ×3, first 2 shown]
	v_fma_f64 v[57:58], v[18:19], s[6:7], v[32:33]
	v_fma_f64 v[18:19], v[18:19], s[4:5], v[32:33]
	s_waitcnt lgkmcnt(0)
	s_barrier
	buffer_gl0_inv
	ds_read2_b64 v[0:3], v20 offset1:243
	ds_read2_b64 v[4:7], v23 offset0:6 offset1:249
	ds_read2_b64 v[8:11], v22 offset0:2 offset1:245
	;; [unrolled: 1-line block ×3, first 2 shown]
	ds_read_b64 v[59:60], v20 offset:15552
	s_waitcnt lgkmcnt(0)
	s_barrier
	buffer_gl0_inv
	ds_write2_b64 v16, v[28:29], v[47:48] offset1:81
	ds_write_b64 v16, v[41:42] offset:1296
	ds_write2_b64 v69, v[30:31], v[49:50] offset1:81
	ds_write_b64 v69, v[53:54] offset:1296
	;; [unrolled: 2-line block ×3, first 2 shown]
	v_add_co_u32 v18, s0, 0xf00, v71
	v_add_co_ci_u32_e64 v19, s0, 0, v72, s0
	s_waitcnt lgkmcnt(0)
	s_barrier
	buffer_gl0_inv
	s_clause 0x3
	global_load_dwordx4 v[28:31], v[55:56], off offset:16
	global_load_dwordx4 v[32:35], v[63:64], off offset:1792
	;; [unrolled: 1-line block ×4, first 2 shown]
	ds_read2_b64 v[47:50], v22 offset0:2 offset1:245
	ds_read2_b64 v[51:54], v21 offset0:12 offset1:255
	ds_read_b64 v[18:19], v20 offset:15552
	ds_read2_b64 v[55:58], v23 offset0:6 offset1:249
	v_lshl_add_u32 v16, v75, 3, 0
	s_waitcnt vmcnt(2) lgkmcnt(2)
	v_mul_f64 v[65:66], v[51:52], v[34:35]
	v_mul_f64 v[61:62], v[47:48], v[30:31]
	;; [unrolled: 1-line block ×3, first 2 shown]
	s_waitcnt vmcnt(0) lgkmcnt(1)
	v_mul_f64 v[69:70], v[18:19], v[45:46]
	s_waitcnt lgkmcnt(0)
	v_mul_f64 v[71:72], v[57:58], v[34:35]
	v_mul_f64 v[67:68], v[53:54], v[41:42]
	;; [unrolled: 1-line block ×3, first 2 shown]
	v_fma_f64 v[61:62], v[8:9], v[28:29], v[61:62]
	v_fma_f64 v[63:64], v[10:11], v[28:29], v[63:64]
	v_mul_f64 v[8:9], v[10:11], v[30:31]
	v_mul_f64 v[10:11], v[14:15], v[41:42]
	v_fma_f64 v[30:31], v[12:13], v[32:33], v[65:66]
	v_mul_f64 v[12:13], v[12:13], v[34:35]
	v_mul_f64 v[41:42], v[59:60], v[45:46]
	v_fma_f64 v[45:46], v[59:60], v[43:44], v[69:70]
	v_mul_f64 v[34:35], v[6:7], v[34:35]
	v_fma_f64 v[59:60], v[6:7], v[32:33], v[71:72]
	v_fma_f64 v[14:15], v[14:15], v[39:40], v[67:68]
	v_fma_f64 v[47:48], v[47:48], v[28:29], -v[73:74]
	v_fma_f64 v[28:29], v[49:50], v[28:29], -v[8:9]
	;; [unrolled: 1-line block ×3, first 2 shown]
	v_add_f64 v[39:40], v[30:31], v[63:64]
	v_fma_f64 v[12:13], v[51:52], v[32:33], -v[12:13]
	v_fma_f64 v[18:19], v[18:19], v[43:44], -v[41:42]
	ds_read2_b64 v[6:9], v20 offset1:243
	v_fma_f64 v[34:35], v[57:58], v[32:33], -v[34:35]
	v_add_f64 v[32:33], v[59:60], v[61:62]
	v_add_f64 v[41:42], v[14:15], v[45:46]
	;; [unrolled: 1-line block ×5, first 2 shown]
	v_add_f64 v[30:31], v[30:31], -v[63:64]
	v_add_f64 v[14:15], v[14:15], -v[45:46]
	s_waitcnt lgkmcnt(0)
	s_barrier
	buffer_gl0_inv
	v_fma_f64 v[2:3], v[39:40], -0.5, v[2:3]
	v_add_f64 v[51:52], v[12:13], v[28:29]
	v_add_f64 v[53:54], v[10:11], v[18:19]
	v_add_f64 v[39:40], v[10:11], -v[18:19]
	v_add_f64 v[49:50], v[34:35], v[47:48]
	v_add_f64 v[67:68], v[34:35], -v[47:48]
	v_fma_f64 v[0:1], v[32:33], -0.5, v[0:1]
	v_add_f64 v[32:33], v[12:13], -v[28:29]
	v_fma_f64 v[4:5], v[41:42], -0.5, v[4:5]
	v_add_f64 v[34:35], v[6:7], v[34:35]
	v_add_f64 v[12:13], v[8:9], v[12:13]
	;; [unrolled: 1-line block ×3, first 2 shown]
	v_add_f64 v[41:42], v[59:60], -v[61:62]
	v_add_f64 v[43:44], v[43:44], v[61:62]
	v_add_f64 v[45:46], v[65:66], v[45:46]
	v_add_nc_u32_e32 v61, 0x2d80, v16
	v_fma_f64 v[8:9], v[51:52], -0.5, v[8:9]
	v_add_f64 v[51:52], v[57:58], v[63:64]
	v_fma_f64 v[6:7], v[49:50], -0.5, v[6:7]
	v_fma_f64 v[49:50], v[53:54], -0.5, v[55:56]
	v_fma_f64 v[53:54], v[67:68], s[4:5], v[0:1]
	v_fma_f64 v[0:1], v[67:68], s[6:7], v[0:1]
	;; [unrolled: 1-line block ×6, first 2 shown]
	v_add_f64 v[34:35], v[34:35], v[47:48]
	v_add_f64 v[28:29], v[12:13], v[28:29]
	;; [unrolled: 1-line block ×3, first 2 shown]
	ds_write2_b64 v20, v[43:44], v[53:54] offset1:243
	ds_write2_b64 v23, v[0:1], v[51:52] offset0:6 offset1:249
	ds_write2_b64 v21, v[55:56], v[2:3] offset0:12 offset1:255
	;; [unrolled: 1-line block ×3, first 2 shown]
	ds_write_b64 v16, v[4:5] offset:15552
	v_fma_f64 v[47:48], v[41:42], s[6:7], v[6:7]
	v_fma_f64 v[41:42], v[41:42], s[4:5], v[6:7]
	;; [unrolled: 1-line block ×6, first 2 shown]
	s_waitcnt lgkmcnt(0)
	s_barrier
	buffer_gl0_inv
	ds_read2_b64 v[0:3], v20 offset1:243
	ds_read2_b64 v[4:7], v23 offset0:6 offset1:249
	ds_read2_b64 v[8:11], v22 offset0:2 offset1:245
	;; [unrolled: 1-line block ×3, first 2 shown]
	ds_read_b64 v[18:19], v20 offset:15552
	s_waitcnt lgkmcnt(0)
	s_barrier
	buffer_gl0_inv
	ds_write2_b64 v20, v[34:35], v[47:48] offset1:243
	ds_write2_b64 v23, v[41:42], v[28:29] offset0:6 offset1:249
	ds_write2_b64 v21, v[57:58], v[30:31] offset0:12 offset1:255
	;; [unrolled: 1-line block ×3, first 2 shown]
	ds_write_b64 v16, v[49:50] offset:15552
	s_waitcnt lgkmcnt(0)
	s_barrier
	buffer_gl0_inv
	s_and_saveexec_b32 s0, vcc_lo
	s_cbranch_execz .LBB0_13
; %bb.12:
	v_lshlrev_b32_e32 v16, 1, v25
	v_lshlrev_b64 v[28:29], 4, v[16:17]
	v_lshlrev_b32_e32 v16, 1, v24
	v_lshlrev_b64 v[43:44], 4, v[16:17]
	v_add_co_u32 v45, vcc_lo, s8, v28
	v_add_co_ci_u32_e32 v46, vcc_lo, s9, v29, vcc_lo
	v_add_co_u32 v28, vcc_lo, 0x2d60, v45
	v_add_co_ci_u32_e32 v29, vcc_lo, 0, v46, vcc_lo
	;; [unrolled: 2-line block ×4, first 2 shown]
	s_clause 0x2
	global_load_dwordx4 v[28:31], v[28:29], off offset:16
	global_load_dwordx4 v[32:35], v[32:33], off offset:1376
	;; [unrolled: 1-line block ×3, first 2 shown]
	v_add_co_u32 v16, vcc_lo, s8, v43
	v_add_co_ci_u32_e32 v24, vcc_lo, s9, v44, vcc_lo
	v_add_co_u32 v26, vcc_lo, 0x2800, v45
	v_add_co_ci_u32_e32 v27, vcc_lo, 0, v46, vcc_lo
	;; [unrolled: 2-line block ×4, first 2 shown]
	s_clause 0x2
	global_load_dwordx4 v[43:46], v[26:27], off offset:1376
	global_load_dwordx4 v[47:50], v[47:48], off offset:1376
	;; [unrolled: 1-line block ×3, first 2 shown]
	ds_read_b64 v[26:27], v20 offset:15552
	ds_read2_b64 v[55:58], v23 offset0:6 offset1:249
	ds_read2_b64 v[59:62], v22 offset0:2 offset1:245
	;; [unrolled: 1-line block ×3, first 2 shown]
	v_mul_hi_u32 v16, 0x59e60383, v25
	s_waitcnt vmcnt(5)
	v_mul_f64 v[63:64], v[18:19], v[30:31]
	s_waitcnt lgkmcnt(3)
	v_mul_f64 v[30:31], v[26:27], v[30:31]
	s_waitcnt vmcnt(4)
	v_mul_f64 v[65:66], v[6:7], v[34:35]
	s_waitcnt lgkmcnt(2)
	v_mul_f64 v[34:35], v[57:58], v[34:35]
	;; [unrolled: 4-line block ×3, first 2 shown]
	v_fma_f64 v[26:27], v[26:27], v[28:29], -v[63:64]
	s_waitcnt vmcnt(2)
	v_mul_f64 v[63:64], v[14:15], v[45:46]
	v_fma_f64 v[18:19], v[18:19], v[28:29], v[30:31]
	s_waitcnt lgkmcnt(0)
	v_mul_f64 v[28:29], v[23:24], v[45:46]
	s_waitcnt vmcnt(1)
	v_mul_f64 v[30:31], v[12:13], v[49:50]
	s_waitcnt vmcnt(0)
	v_mul_f64 v[45:46], v[10:11], v[53:54]
	v_fma_f64 v[57:58], v[57:58], v[32:33], -v[65:66]
	v_fma_f64 v[32:33], v[6:7], v[32:33], v[34:35]
	v_mul_f64 v[34:35], v[21:22], v[49:50]
	v_mul_f64 v[49:50], v[61:62], v[53:54]
	v_fma_f64 v[53:54], v[59:60], v[39:40], -v[67:68]
	v_fma_f64 v[40:41], v[8:9], v[39:40], v[41:42]
	ds_read2_b64 v[6:9], v20 offset1:243
	v_mov_b32_e32 v39, v17
	v_fma_f64 v[23:24], v[23:24], v[43:44], -v[63:64]
	v_fma_f64 v[14:15], v[14:15], v[43:44], v[28:29]
	v_fma_f64 v[20:21], v[21:22], v[47:48], -v[30:31]
	v_fma_f64 v[28:29], v[61:62], v[51:52], -v[45:46]
	v_lshlrev_b64 v[30:31], 4, v[38:39]
	v_fma_f64 v[12:13], v[12:13], v[47:48], v[34:35]
	v_fma_f64 v[34:35], v[10:11], v[51:52], v[49:50]
	v_add_co_u32 v52, vcc_lo, s2, v36
	v_add_co_ci_u32_e32 v83, vcc_lo, s3, v37, vcc_lo
	v_lshrrev_b32_e32 v10, 8, v16
	v_add_co_u32 v36, vcc_lo, v52, v30
	v_add_co_ci_u32_e32 v37, vcc_lo, v83, v31, vcc_lo
	v_mad_u32_u24 v16, 0x5b2, v10, v25
	v_add_f64 v[10:11], v[57:58], v[53:54]
	v_add_f64 v[30:31], v[32:33], v[40:41]
	v_add_f64 v[61:62], v[32:33], -v[40:41]
	v_add_f64 v[42:43], v[23:24], v[26:27]
	s_waitcnt lgkmcnt(0)
	v_add_f64 v[63:64], v[6:7], v[57:58]
	v_add_f64 v[44:45], v[14:15], v[18:19]
	;; [unrolled: 1-line block ×8, first 2 shown]
	v_add_f64 v[57:58], v[57:58], -v[53:54]
	v_add_f64 v[65:66], v[55:56], v[23:24]
	v_add_f64 v[77:78], v[20:21], -v[28:29]
	v_add_f64 v[75:76], v[14:15], -v[18:19]
	;; [unrolled: 1-line block ×3, first 2 shown]
	v_add_co_u32 v38, vcc_lo, 0x2800, v36
	v_add_co_ci_u32_e32 v39, vcc_lo, 0, v37, vcc_lo
	v_add_co_u32 v48, vcc_lo, 0x5800, v36
	v_fma_f64 v[73:74], v[10:11], -0.5, v[6:7]
	v_fma_f64 v[30:31], v[30:31], -0.5, v[0:1]
	;; [unrolled: 1-line block ×3, first 2 shown]
	v_add_f64 v[55:56], v[12:13], -v[34:35]
	v_fma_f64 v[44:45], v[44:45], -0.5, v[4:5]
	v_add_f64 v[0:1], v[32:33], v[40:41]
	v_fma_f64 v[46:47], v[46:47], -0.5, v[8:9]
	v_add_f64 v[10:11], v[69:70], v[28:29]
	v_lshlrev_b64 v[81:82], 4, v[16:17]
	v_add_f64 v[8:9], v[71:72], v[34:35]
	v_fma_f64 v[50:51], v[50:51], -0.5, v[2:3]
	v_add_f64 v[2:3], v[63:64], v[53:54]
	v_add_f64 v[4:5], v[67:68], v[18:19]
	v_add_co_ci_u32_e32 v49, vcc_lo, 0, v37, vcc_lo
	v_add_co_u32 v59, vcc_lo, 0x800, v36
	v_add_f64 v[6:7], v[65:66], v[26:27]
	v_add_co_ci_u32_e32 v60, vcc_lo, 0, v37, vcc_lo
	v_add_co_u32 v79, vcc_lo, 0x3800, v36
	v_fma_f64 v[18:19], v[61:62], s[6:7], v[73:74]
	v_fma_f64 v[16:17], v[57:58], s[4:5], v[30:31]
	;; [unrolled: 1-line block ×12, first 2 shown]
	v_add_co_ci_u32_e32 v80, vcc_lo, 0, v37, vcc_lo
	v_add_co_u32 v40, vcc_lo, v52, v81
	v_add_co_ci_u32_e32 v41, vcc_lo, v83, v82, vcc_lo
	v_add_co_u32 v42, vcc_lo, 0x6800, v36
	;; [unrolled: 2-line block ×4, first 2 shown]
	v_add_co_ci_u32_e32 v47, vcc_lo, 0, v41, vcc_lo
	global_store_dwordx4 v[36:37], v[0:3], off
	global_store_dwordx4 v[59:60], v[8:11], off offset:1840
	global_store_dwordx4 v[38:39], v[16:19], off offset:1424
	;; [unrolled: 1-line block ×5, first 2 shown]
	global_store_dwordx4 v[40:41], v[4:7], off
	global_store_dwordx4 v[44:45], v[24:27], off offset:1424
	global_store_dwordx4 v[46:47], v[20:23], off offset:800
.LBB0_13:
	s_endpgm
	.section	.rodata,"a",@progbits
	.p2align	6, 0x0
	.amdhsa_kernel fft_rtc_back_len2187_factors_3_3_3_3_3_3_3_wgs_243_tpt_243_halfLds_dp_ip_CI_unitstride_sbrr_dirReg
		.amdhsa_group_segment_fixed_size 0
		.amdhsa_private_segment_fixed_size 0
		.amdhsa_kernarg_size 88
		.amdhsa_user_sgpr_count 6
		.amdhsa_user_sgpr_private_segment_buffer 1
		.amdhsa_user_sgpr_dispatch_ptr 0
		.amdhsa_user_sgpr_queue_ptr 0
		.amdhsa_user_sgpr_kernarg_segment_ptr 1
		.amdhsa_user_sgpr_dispatch_id 0
		.amdhsa_user_sgpr_flat_scratch_init 0
		.amdhsa_user_sgpr_private_segment_size 0
		.amdhsa_wavefront_size32 1
		.amdhsa_uses_dynamic_stack 0
		.amdhsa_system_sgpr_private_segment_wavefront_offset 0
		.amdhsa_system_sgpr_workgroup_id_x 1
		.amdhsa_system_sgpr_workgroup_id_y 0
		.amdhsa_system_sgpr_workgroup_id_z 0
		.amdhsa_system_sgpr_workgroup_info 0
		.amdhsa_system_vgpr_workitem_id 0
		.amdhsa_next_free_vgpr 84
		.amdhsa_next_free_sgpr 21
		.amdhsa_reserve_vcc 1
		.amdhsa_reserve_flat_scratch 0
		.amdhsa_float_round_mode_32 0
		.amdhsa_float_round_mode_16_64 0
		.amdhsa_float_denorm_mode_32 3
		.amdhsa_float_denorm_mode_16_64 3
		.amdhsa_dx10_clamp 1
		.amdhsa_ieee_mode 1
		.amdhsa_fp16_overflow 0
		.amdhsa_workgroup_processor_mode 1
		.amdhsa_memory_ordered 1
		.amdhsa_forward_progress 0
		.amdhsa_shared_vgpr_count 0
		.amdhsa_exception_fp_ieee_invalid_op 0
		.amdhsa_exception_fp_denorm_src 0
		.amdhsa_exception_fp_ieee_div_zero 0
		.amdhsa_exception_fp_ieee_overflow 0
		.amdhsa_exception_fp_ieee_underflow 0
		.amdhsa_exception_fp_ieee_inexact 0
		.amdhsa_exception_int_div_zero 0
	.end_amdhsa_kernel
	.text
.Lfunc_end0:
	.size	fft_rtc_back_len2187_factors_3_3_3_3_3_3_3_wgs_243_tpt_243_halfLds_dp_ip_CI_unitstride_sbrr_dirReg, .Lfunc_end0-fft_rtc_back_len2187_factors_3_3_3_3_3_3_3_wgs_243_tpt_243_halfLds_dp_ip_CI_unitstride_sbrr_dirReg
                                        ; -- End function
	.section	.AMDGPU.csdata,"",@progbits
; Kernel info:
; codeLenInByte = 8492
; NumSgprs: 23
; NumVgprs: 84
; ScratchSize: 0
; MemoryBound: 1
; FloatMode: 240
; IeeeMode: 1
; LDSByteSize: 0 bytes/workgroup (compile time only)
; SGPRBlocks: 2
; VGPRBlocks: 10
; NumSGPRsForWavesPerEU: 23
; NumVGPRsForWavesPerEU: 84
; Occupancy: 10
; WaveLimiterHint : 1
; COMPUTE_PGM_RSRC2:SCRATCH_EN: 0
; COMPUTE_PGM_RSRC2:USER_SGPR: 6
; COMPUTE_PGM_RSRC2:TRAP_HANDLER: 0
; COMPUTE_PGM_RSRC2:TGID_X_EN: 1
; COMPUTE_PGM_RSRC2:TGID_Y_EN: 0
; COMPUTE_PGM_RSRC2:TGID_Z_EN: 0
; COMPUTE_PGM_RSRC2:TIDIG_COMP_CNT: 0
	.text
	.p2alignl 6, 3214868480
	.fill 48, 4, 3214868480
	.type	__hip_cuid_9bb866038f787723,@object ; @__hip_cuid_9bb866038f787723
	.section	.bss,"aw",@nobits
	.globl	__hip_cuid_9bb866038f787723
__hip_cuid_9bb866038f787723:
	.byte	0                               ; 0x0
	.size	__hip_cuid_9bb866038f787723, 1

	.ident	"AMD clang version 19.0.0git (https://github.com/RadeonOpenCompute/llvm-project roc-6.4.0 25133 c7fe45cf4b819c5991fe208aaa96edf142730f1d)"
	.section	".note.GNU-stack","",@progbits
	.addrsig
	.addrsig_sym __hip_cuid_9bb866038f787723
	.amdgpu_metadata
---
amdhsa.kernels:
  - .args:
      - .actual_access:  read_only
        .address_space:  global
        .offset:         0
        .size:           8
        .value_kind:     global_buffer
      - .offset:         8
        .size:           8
        .value_kind:     by_value
      - .actual_access:  read_only
        .address_space:  global
        .offset:         16
        .size:           8
        .value_kind:     global_buffer
      - .actual_access:  read_only
        .address_space:  global
        .offset:         24
        .size:           8
        .value_kind:     global_buffer
      - .offset:         32
        .size:           8
        .value_kind:     by_value
      - .actual_access:  read_only
        .address_space:  global
        .offset:         40
        .size:           8
        .value_kind:     global_buffer
      - .actual_access:  read_only
        .address_space:  global
        .offset:         48
        .size:           8
        .value_kind:     global_buffer
      - .offset:         56
        .size:           4
        .value_kind:     by_value
      - .actual_access:  read_only
        .address_space:  global
        .offset:         64
        .size:           8
        .value_kind:     global_buffer
      - .actual_access:  read_only
        .address_space:  global
        .offset:         72
        .size:           8
        .value_kind:     global_buffer
      - .address_space:  global
        .offset:         80
        .size:           8
        .value_kind:     global_buffer
    .group_segment_fixed_size: 0
    .kernarg_segment_align: 8
    .kernarg_segment_size: 88
    .language:       OpenCL C
    .language_version:
      - 2
      - 0
    .max_flat_workgroup_size: 243
    .name:           fft_rtc_back_len2187_factors_3_3_3_3_3_3_3_wgs_243_tpt_243_halfLds_dp_ip_CI_unitstride_sbrr_dirReg
    .private_segment_fixed_size: 0
    .sgpr_count:     23
    .sgpr_spill_count: 0
    .symbol:         fft_rtc_back_len2187_factors_3_3_3_3_3_3_3_wgs_243_tpt_243_halfLds_dp_ip_CI_unitstride_sbrr_dirReg.kd
    .uniform_work_group_size: 1
    .uses_dynamic_stack: false
    .vgpr_count:     84
    .vgpr_spill_count: 0
    .wavefront_size: 32
    .workgroup_processor_mode: 1
amdhsa.target:   amdgcn-amd-amdhsa--gfx1030
amdhsa.version:
  - 1
  - 2
...

	.end_amdgpu_metadata
